;; amdgpu-corpus repo=ROCm/rocFFT kind=compiled arch=gfx906 opt=O3
	.text
	.amdgcn_target "amdgcn-amd-amdhsa--gfx906"
	.amdhsa_code_object_version 6
	.protected	fft_rtc_fwd_len800_factors_16_5_10_wgs_160_tpt_160_halfLds_sp_op_CI_CI_unitstride_sbrr_dirReg ; -- Begin function fft_rtc_fwd_len800_factors_16_5_10_wgs_160_tpt_160_halfLds_sp_op_CI_CI_unitstride_sbrr_dirReg
	.globl	fft_rtc_fwd_len800_factors_16_5_10_wgs_160_tpt_160_halfLds_sp_op_CI_CI_unitstride_sbrr_dirReg
	.p2align	8
	.type	fft_rtc_fwd_len800_factors_16_5_10_wgs_160_tpt_160_halfLds_sp_op_CI_CI_unitstride_sbrr_dirReg,@function
fft_rtc_fwd_len800_factors_16_5_10_wgs_160_tpt_160_halfLds_sp_op_CI_CI_unitstride_sbrr_dirReg: ; @fft_rtc_fwd_len800_factors_16_5_10_wgs_160_tpt_160_halfLds_sp_op_CI_CI_unitstride_sbrr_dirReg
; %bb.0:
	s_load_dwordx4 s[8:11], s[4:5], 0x58
	s_load_dwordx4 s[12:15], s[4:5], 0x0
	;; [unrolled: 1-line block ×3, first 2 shown]
	v_mul_u32_u24_e32 v1, 0x19a, v0
	v_mov_b32_e32 v3, 0
	v_mov_b32_e32 v7, 0
	s_waitcnt lgkmcnt(0)
	v_cmp_lt_u64_e64 s[0:1], s[14:15], 2
	v_add_u32_sdwa v9, s6, v1 dst_sel:DWORD dst_unused:UNUSED_PAD src0_sel:DWORD src1_sel:WORD_1
	v_mov_b32_e32 v10, v3
	s_and_b64 vcc, exec, s[0:1]
	v_mov_b32_e32 v8, 0
	s_cbranch_vccnz .LBB0_8
; %bb.1:
	s_load_dwordx2 s[0:1], s[4:5], 0x10
	s_add_u32 s2, s18, 8
	s_addc_u32 s3, s19, 0
	s_add_u32 s6, s16, 8
	s_addc_u32 s7, s17, 0
	v_mov_b32_e32 v7, 0
	s_waitcnt lgkmcnt(0)
	s_add_u32 s20, s0, 8
	v_mov_b32_e32 v8, 0
	v_mov_b32_e32 v1, v7
	s_addc_u32 s21, s1, 0
	s_mov_b64 s[22:23], 1
	v_mov_b32_e32 v2, v8
.LBB0_2:                                ; =>This Inner Loop Header: Depth=1
	s_load_dwordx2 s[24:25], s[20:21], 0x0
                                        ; implicit-def: $vgpr5_vgpr6
	s_waitcnt lgkmcnt(0)
	v_or_b32_e32 v4, s25, v10
	v_cmp_ne_u64_e32 vcc, 0, v[3:4]
	s_and_saveexec_b64 s[0:1], vcc
	s_xor_b64 s[26:27], exec, s[0:1]
	s_cbranch_execz .LBB0_4
; %bb.3:                                ;   in Loop: Header=BB0_2 Depth=1
	v_cvt_f32_u32_e32 v4, s24
	v_cvt_f32_u32_e32 v5, s25
	s_sub_u32 s0, 0, s24
	s_subb_u32 s1, 0, s25
	v_mac_f32_e32 v4, 0x4f800000, v5
	v_rcp_f32_e32 v4, v4
	v_mul_f32_e32 v4, 0x5f7ffffc, v4
	v_mul_f32_e32 v5, 0x2f800000, v4
	v_trunc_f32_e32 v5, v5
	v_mac_f32_e32 v4, 0xcf800000, v5
	v_cvt_u32_f32_e32 v5, v5
	v_cvt_u32_f32_e32 v4, v4
	v_mul_lo_u32 v6, s0, v5
	v_mul_hi_u32 v11, s0, v4
	v_mul_lo_u32 v13, s1, v4
	v_mul_lo_u32 v12, s0, v4
	v_add_u32_e32 v6, v11, v6
	v_add_u32_e32 v6, v6, v13
	v_mul_hi_u32 v11, v4, v12
	v_mul_lo_u32 v13, v4, v6
	v_mul_hi_u32 v15, v4, v6
	v_mul_hi_u32 v14, v5, v12
	v_mul_lo_u32 v12, v5, v12
	v_mul_hi_u32 v16, v5, v6
	v_add_co_u32_e32 v11, vcc, v11, v13
	v_addc_co_u32_e32 v13, vcc, 0, v15, vcc
	v_mul_lo_u32 v6, v5, v6
	v_add_co_u32_e32 v11, vcc, v11, v12
	v_addc_co_u32_e32 v11, vcc, v13, v14, vcc
	v_addc_co_u32_e32 v12, vcc, 0, v16, vcc
	v_add_co_u32_e32 v6, vcc, v11, v6
	v_addc_co_u32_e32 v11, vcc, 0, v12, vcc
	v_add_co_u32_e32 v4, vcc, v4, v6
	v_addc_co_u32_e32 v5, vcc, v5, v11, vcc
	v_mul_lo_u32 v6, s0, v5
	v_mul_hi_u32 v11, s0, v4
	v_mul_lo_u32 v12, s1, v4
	v_mul_lo_u32 v13, s0, v4
	v_add_u32_e32 v6, v11, v6
	v_add_u32_e32 v6, v6, v12
	v_mul_lo_u32 v14, v4, v6
	v_mul_hi_u32 v15, v4, v13
	v_mul_hi_u32 v16, v4, v6
	v_mul_hi_u32 v12, v5, v13
	v_mul_lo_u32 v13, v5, v13
	v_mul_hi_u32 v11, v5, v6
	v_add_co_u32_e32 v14, vcc, v15, v14
	v_addc_co_u32_e32 v15, vcc, 0, v16, vcc
	v_mul_lo_u32 v6, v5, v6
	v_add_co_u32_e32 v13, vcc, v14, v13
	v_addc_co_u32_e32 v12, vcc, v15, v12, vcc
	v_addc_co_u32_e32 v11, vcc, 0, v11, vcc
	v_add_co_u32_e32 v6, vcc, v12, v6
	v_addc_co_u32_e32 v11, vcc, 0, v11, vcc
	v_add_co_u32_e32 v6, vcc, v4, v6
	v_addc_co_u32_e32 v11, vcc, v5, v11, vcc
	v_mad_u64_u32 v[4:5], s[0:1], v9, v11, 0
	v_mul_hi_u32 v12, v9, v6
	v_add_co_u32_e32 v13, vcc, v12, v4
	v_addc_co_u32_e32 v14, vcc, 0, v5, vcc
	v_mad_u64_u32 v[4:5], s[0:1], v10, v6, 0
	v_mad_u64_u32 v[11:12], s[0:1], v10, v11, 0
	v_add_co_u32_e32 v4, vcc, v13, v4
	v_addc_co_u32_e32 v4, vcc, v14, v5, vcc
	v_addc_co_u32_e32 v5, vcc, 0, v12, vcc
	v_add_co_u32_e32 v11, vcc, v4, v11
	v_addc_co_u32_e32 v6, vcc, 0, v5, vcc
	v_mul_lo_u32 v12, s25, v11
	v_mul_lo_u32 v13, s24, v6
	v_mad_u64_u32 v[4:5], s[0:1], s24, v11, 0
	v_add3_u32 v5, v5, v13, v12
	v_sub_u32_e32 v12, v10, v5
	v_mov_b32_e32 v13, s25
	v_sub_co_u32_e32 v4, vcc, v9, v4
	v_subb_co_u32_e64 v12, s[0:1], v12, v13, vcc
	v_subrev_co_u32_e64 v13, s[0:1], s24, v4
	v_subbrev_co_u32_e64 v12, s[0:1], 0, v12, s[0:1]
	v_cmp_le_u32_e64 s[0:1], s25, v12
	v_cndmask_b32_e64 v14, 0, -1, s[0:1]
	v_cmp_le_u32_e64 s[0:1], s24, v13
	v_cndmask_b32_e64 v13, 0, -1, s[0:1]
	v_cmp_eq_u32_e64 s[0:1], s25, v12
	v_cndmask_b32_e64 v12, v14, v13, s[0:1]
	v_add_co_u32_e64 v13, s[0:1], 2, v11
	v_addc_co_u32_e64 v14, s[0:1], 0, v6, s[0:1]
	v_add_co_u32_e64 v15, s[0:1], 1, v11
	v_addc_co_u32_e64 v16, s[0:1], 0, v6, s[0:1]
	v_subb_co_u32_e32 v5, vcc, v10, v5, vcc
	v_cmp_ne_u32_e64 s[0:1], 0, v12
	v_cmp_le_u32_e32 vcc, s25, v5
	v_cndmask_b32_e64 v12, v16, v14, s[0:1]
	v_cndmask_b32_e64 v14, 0, -1, vcc
	v_cmp_le_u32_e32 vcc, s24, v4
	v_cndmask_b32_e64 v4, 0, -1, vcc
	v_cmp_eq_u32_e32 vcc, s25, v5
	v_cndmask_b32_e32 v4, v14, v4, vcc
	v_cmp_ne_u32_e32 vcc, 0, v4
	v_cndmask_b32_e64 v4, v15, v13, s[0:1]
	v_cndmask_b32_e32 v6, v6, v12, vcc
	v_cndmask_b32_e32 v5, v11, v4, vcc
.LBB0_4:                                ;   in Loop: Header=BB0_2 Depth=1
	s_andn2_saveexec_b64 s[0:1], s[26:27]
	s_cbranch_execz .LBB0_6
; %bb.5:                                ;   in Loop: Header=BB0_2 Depth=1
	v_cvt_f32_u32_e32 v4, s24
	s_sub_i32 s26, 0, s24
	v_rcp_iflag_f32_e32 v4, v4
	v_mul_f32_e32 v4, 0x4f7ffffe, v4
	v_cvt_u32_f32_e32 v4, v4
	v_mul_lo_u32 v5, s26, v4
	v_mul_hi_u32 v5, v4, v5
	v_add_u32_e32 v4, v4, v5
	v_mul_hi_u32 v4, v9, v4
	v_mul_lo_u32 v5, v4, s24
	v_add_u32_e32 v6, 1, v4
	v_sub_u32_e32 v5, v9, v5
	v_subrev_u32_e32 v11, s24, v5
	v_cmp_le_u32_e32 vcc, s24, v5
	v_cndmask_b32_e32 v5, v5, v11, vcc
	v_cndmask_b32_e32 v4, v4, v6, vcc
	v_add_u32_e32 v6, 1, v4
	v_cmp_le_u32_e32 vcc, s24, v5
	v_cndmask_b32_e32 v5, v4, v6, vcc
	v_mov_b32_e32 v6, v3
.LBB0_6:                                ;   in Loop: Header=BB0_2 Depth=1
	s_or_b64 exec, exec, s[0:1]
	v_mul_lo_u32 v4, v6, s24
	v_mul_lo_u32 v13, v5, s25
	v_mad_u64_u32 v[11:12], s[0:1], v5, s24, 0
	s_load_dwordx2 s[0:1], s[6:7], 0x0
	s_load_dwordx2 s[24:25], s[2:3], 0x0
	v_add3_u32 v4, v12, v13, v4
	v_sub_co_u32_e32 v9, vcc, v9, v11
	v_subb_co_u32_e32 v4, vcc, v10, v4, vcc
	s_waitcnt lgkmcnt(0)
	v_mul_lo_u32 v10, s0, v4
	v_mul_lo_u32 v11, s1, v9
	v_mad_u64_u32 v[7:8], s[0:1], s0, v9, v[7:8]
	s_add_u32 s22, s22, 1
	s_addc_u32 s23, s23, 0
	s_add_u32 s2, s2, 8
	v_mul_lo_u32 v4, s24, v4
	v_mul_lo_u32 v12, s25, v9
	v_mad_u64_u32 v[1:2], s[0:1], s24, v9, v[1:2]
	v_add3_u32 v8, v11, v8, v10
	s_addc_u32 s3, s3, 0
	v_mov_b32_e32 v9, s14
	s_add_u32 s6, s6, 8
	v_mov_b32_e32 v10, s15
	s_addc_u32 s7, s7, 0
	v_cmp_ge_u64_e32 vcc, s[22:23], v[9:10]
	s_add_u32 s20, s20, 8
	v_add3_u32 v2, v12, v2, v4
	s_addc_u32 s21, s21, 0
	s_cbranch_vccnz .LBB0_9
; %bb.7:                                ;   in Loop: Header=BB0_2 Depth=1
	v_mov_b32_e32 v10, v6
	v_mov_b32_e32 v9, v5
	s_branch .LBB0_2
.LBB0_8:
	v_mov_b32_e32 v1, v7
	v_mov_b32_e32 v5, v9
	;; [unrolled: 1-line block ×4, first 2 shown]
.LBB0_9:
	s_load_dwordx2 s[0:1], s[4:5], 0x28
	s_mov_b32 s4, 0x199999a
	v_mul_hi_u32 v3, v0, s4
	s_lshl_b64 s[2:3], s[14:15], 3
	s_add_u32 s4, s18, s2
	s_waitcnt lgkmcnt(0)
	v_cmp_gt_u64_e32 vcc, s[0:1], v[5:6]
	v_mul_u32_u24_e32 v3, 0xa0, v3
	v_sub_u32_e32 v3, v0, v3
	v_cmp_gt_u32_e64 s[0:1], 50, v3
	s_addc_u32 s5, s19, s3
	s_and_b64 s[14:15], vcc, s[0:1]
	v_mov_b32_e32 v13, 0
	v_mov_b32_e32 v12, 0
	;; [unrolled: 1-line block ×16, first 2 shown]
                                        ; implicit-def: $vgpr17
                                        ; implicit-def: $vgpr29
                                        ; implicit-def: $vgpr33
                                        ; implicit-def: $vgpr31
                                        ; implicit-def: $vgpr39
                                        ; implicit-def: $vgpr35
                                        ; implicit-def: $vgpr41
                                        ; implicit-def: $vgpr37
	s_and_saveexec_b64 s[6:7], s[14:15]
	s_cbranch_execz .LBB0_11
; %bb.10:
	s_add_u32 s2, s16, s2
	s_addc_u32 s3, s17, s3
	s_load_dwordx2 s[2:3], s[2:3], 0x0
	v_mov_b32_e32 v12, s9
	v_lshlrev_b64 v[7:8], 3, v[7:8]
	v_mov_b32_e32 v4, 0
	s_waitcnt lgkmcnt(0)
	v_mul_lo_u32 v0, s3, v5
	v_mul_lo_u32 v11, s2, v6
	v_mad_u64_u32 v[9:10], s[2:3], s2, v5, 0
	v_add3_u32 v10, v10, v11, v0
	v_lshlrev_b64 v[9:10], 3, v[9:10]
	v_add_co_u32_e64 v0, s[2:3], s8, v9
	v_addc_co_u32_e64 v9, s[2:3], v12, v10, s[2:3]
	v_add_co_u32_e64 v0, s[2:3], v0, v7
	v_addc_co_u32_e64 v9, s[2:3], v9, v8, s[2:3]
	v_lshlrev_b64 v[7:8], 3, v[3:4]
	v_add_co_u32_e64 v7, s[2:3], v0, v7
	v_addc_co_u32_e64 v8, s[2:3], v9, v8, s[2:3]
	s_movk_i32 s2, 0x1000
	v_add_co_u32_e64 v42, s[2:3], s2, v7
	global_load_dwordx2 v[12:13], v[7:8], off
	global_load_dwordx2 v[9:10], v[7:8], off offset:400
	global_load_dwordx2 v[20:21], v[7:8], off offset:800
	;; [unrolled: 1-line block ×7, first 2 shown]
	v_addc_co_u32_e64 v43, s[2:3], 0, v8, s[2:3]
	global_load_dwordx2 v[16:17], v[7:8], off offset:3200
	global_load_dwordx2 v[28:29], v[7:8], off offset:3600
	global_load_dwordx2 v[32:33], v[7:8], off offset:4000
	global_load_dwordx2 v[30:31], v[42:43], off offset:304
	global_load_dwordx2 v[38:39], v[42:43], off offset:704
	global_load_dwordx2 v[34:35], v[42:43], off offset:1104
	global_load_dwordx2 v[40:41], v[42:43], off offset:1504
	global_load_dwordx2 v[36:37], v[42:43], off offset:1904
.LBB0_11:
	s_or_b64 exec, exec, s[6:7]
	s_waitcnt vmcnt(7)
	v_sub_f32_e32 v7, v12, v16
	s_waitcnt vmcnt(5)
	v_sub_f32_e32 v11, v20, v32
	;; [unrolled: 2-line block ×3, first 2 shown]
	v_fma_f32 v8, v12, 2.0, -v7
	v_sub_f32_e32 v12, v21, v33
	v_fma_f32 v33, v27, 2.0, -v32
	v_sub_f32_e32 v27, v9, v28
	v_sub_f32_e32 v28, v10, v29
	;; [unrolled: 1-line block ×5, first 2 shown]
	v_fma_f32 v35, v22, 2.0, -v29
	v_fma_f32 v38, v23, 2.0, -v34
	v_sub_f32_e32 v22, v18, v30
	v_sub_f32_e32 v23, v19, v31
	s_waitcnt vmcnt(0)
	v_sub_f32_e32 v30, v24, v36
	v_sub_f32_e32 v31, v25, v37
	;; [unrolled: 1-line block ×4, first 2 shown]
	v_fma_f32 v36, v24, 2.0, -v30
	v_add_f32_e32 v42, v28, v29
	v_fma_f32 v39, v27, 2.0, -v41
	v_sub_f32_e32 v24, v22, v31
	v_fma_f32 v9, v9, 2.0, -v27
	v_fma_f32 v18, v18, 2.0, -v22
	;; [unrolled: 1-line block ×4, first 2 shown]
	v_add_f32_e32 v25, v23, v30
	v_fma_f32 v27, v22, 2.0, -v24
	v_mov_b32_e32 v22, v39
	v_fma_f32 v10, v10, 2.0, -v28
	v_fma_f32 v19, v19, 2.0, -v23
	;; [unrolled: 1-line block ×3, first 2 shown]
	v_fmac_f32_e32 v22, 0xbf3504f3, v27
	v_mov_b32_e32 v23, v47
	v_sub_f32_e32 v43, v7, v4
	v_fma_f32 v16, v21, 2.0, -v12
	v_sub_f32_e32 v21, v26, v40
	v_fmac_f32_e32 v23, 0xbf3504f3, v28
	v_fmac_f32_e32 v22, 0xbf3504f3, v28
	v_mov_b32_e32 v28, v42
	v_fma_f32 v7, v7, 2.0, -v43
	v_sub_f32_e32 v29, v11, v32
	v_fma_f32 v20, v20, 2.0, -v11
	v_fma_f32 v26, v26, 2.0, -v21
	v_fmac_f32_e32 v23, 0x3f3504f3, v27
	v_mov_b32_e32 v27, v41
	v_fmac_f32_e32 v28, 0x3f3504f3, v25
	v_fma_f32 v14, v14, 2.0, -v0
	v_add_f32_e32 v21, v12, v21
	v_fma_f32 v11, v11, 2.0, -v29
	v_mov_b32_e32 v48, v7
	v_mov_b32_e32 v46, v43
	v_fmac_f32_e32 v27, 0x3f3504f3, v24
	v_sub_f32_e32 v40, v8, v14
	v_fmac_f32_e32 v28, 0x3f3504f3, v24
	v_sub_f32_e32 v14, v20, v26
	v_sub_f32_e32 v24, v16, v33
	v_fma_f32 v12, v12, 2.0, -v21
	v_sub_f32_e32 v31, v10, v38
	v_sub_f32_e32 v33, v19, v37
	v_fmac_f32_e32 v48, 0xbf3504f3, v11
	v_fmac_f32_e32 v46, 0x3f3504f3, v29
	;; [unrolled: 1-line block ×3, first 2 shown]
	v_fma_f32 v8, v8, 2.0, -v40
	v_fma_f32 v20, v20, 2.0, -v14
	v_sub_f32_e32 v30, v9, v35
	v_fma_f32 v25, v10, 2.0, -v31
	v_sub_f32_e32 v10, v18, v36
	v_fma_f32 v19, v19, 2.0, -v33
	v_fmac_f32_e32 v48, 0xbf3504f3, v12
	v_fmac_f32_e32 v46, 0xbf3504f3, v21
	v_fma_f32 v35, v39, 2.0, -v22
	v_fma_f32 v39, v47, 2.0, -v23
	v_sub_f32_e32 v47, v40, v24
	v_fma_f32 v32, v9, 2.0, -v30
	v_fma_f32 v18, v18, 2.0, -v10
	v_sub_f32_e32 v9, v8, v20
	v_mul_f32_e32 v26, 0x3f3504f3, v11
	v_fma_f32 v45, v7, 2.0, -v48
	v_mul_f32_e32 v37, 0x3f3504f3, v21
	v_sub_f32_e32 v38, v25, v19
	v_sub_f32_e32 v11, v30, v33
	v_mov_b32_e32 v19, v48
	v_mov_b32_e32 v20, v47
	;; [unrolled: 1-line block ×3, first 2 shown]
	v_fma_f32 v44, v8, 2.0, -v9
	v_mul_f32_e32 v34, 0x3f3504f3, v29
	v_sub_f32_e32 v29, v32, v18
	v_add_f32_e32 v10, v31, v10
	v_mov_b32_e32 v8, v45
	v_fmac_f32_e32 v19, 0x3ec3ef15, v22
	v_fmac_f32_e32 v20, 0x3f3504f3, v11
	;; [unrolled: 1-line block ×3, first 2 shown]
	v_mul_f32_e32 v36, 0x3f3504f3, v12
	v_fma_f32 v7, v32, 2.0, -v29
	v_fma_f32 v12, v30, 2.0, -v11
	;; [unrolled: 1-line block ×3, first 2 shown]
	v_fmac_f32_e32 v8, 0xbf6c835e, v35
	v_fmac_f32_e32 v19, 0xbf6c835e, v23
	;; [unrolled: 1-line block ×4, first 2 shown]
	v_fma_f32 v30, v41, 2.0, -v27
	v_fma_f32 v31, v42, 2.0, -v28
	v_sub_f32_e32 v7, v44, v7
	v_fmac_f32_e32 v8, 0xbec3ef15, v39
	v_mul_f32_e32 v32, 0x3f3504f3, v12
	v_mul_f32_e32 v33, 0x3f3504f3, v18
	;; [unrolled: 1-line block ×4, first 2 shown]
	v_fma_f32 v11, v47, 2.0, -v20
	v_fma_f32 v12, v46, 2.0, -v21
	v_fma_f32 v10, v48, 2.0, -v19
	s_and_saveexec_b64 s[2:3], s[0:1]
	s_cbranch_execz .LBB0_13
; %bb.12:
	v_fma_f32 v43, v43, 2.0, -v46
	v_mov_b32_e32 v48, v43
	v_fmac_f32_e32 v48, 0xbec3ef15, v30
	v_fmac_f32_e32 v48, 0xbf6c835e, v31
	v_fma_f32 v40, v40, 2.0, -v47
	v_fma_f32 v50, v43, 2.0, -v48
	v_sub_f32_e32 v43, v40, v32
	v_sub_f32_e32 v47, v43, v33
	;; [unrolled: 1-line block ×3, first 2 shown]
	v_fma_f32 v49, v40, 2.0, -v47
	v_fma_f32 v45, v45, 2.0, -v8
	;; [unrolled: 1-line block ×3, first 2 shown]
	v_lshl_add_u32 v40, v3, 6, 0
	v_fma_f32 v9, v9, 2.0, -v18
	ds_write2_b64 v40, v[44:45], v[49:50] offset1:1
	ds_write2_b64 v40, v[9:10], v[11:12] offset0:2 offset1:3
	ds_write2_b64 v40, v[7:8], v[47:48] offset0:4 offset1:5
	ds_write2_b64 v40, v[18:19], v[20:21] offset0:6 offset1:7
.LBB0_13:
	s_or_b64 exec, exec, s[2:3]
	v_sub_f32_e32 v9, v13, v17
	v_fma_f32 v13, v13, 2.0, -v9
	v_fma_f32 v4, v15, 2.0, -v4
	v_sub_f32_e32 v40, v13, v4
	v_add_f32_e32 v43, v9, v0
	v_fma_f32 v4, v13, 2.0, -v40
	v_fma_f32 v0, v9, 2.0, -v43
	;; [unrolled: 1-line block ×3, first 2 shown]
	v_sub_f32_e32 v17, v4, v9
	v_fma_f32 v44, v4, 2.0, -v17
	v_sub_f32_e32 v4, v0, v36
	v_add_f32_e32 v4, v26, v4
	v_fma_f32 v36, v0, 2.0, -v4
	v_add_f32_e32 v0, v43, v37
	v_add_f32_e32 v45, v40, v14
	;; [unrolled: 1-line block ×3, first 2 shown]
	v_fma_f32 v0, v25, 2.0, -v38
	v_mov_b32_e32 v24, v4
	v_sub_f32_e32 v15, v44, v0
	v_fmac_f32_e32 v24, 0x3ec3ef15, v23
	v_add_f32_e32 v0, v45, v42
	v_fmac_f32_e32 v24, 0x3f6c835e, v22
	v_add_f32_e32 v25, v41, v0
	v_lshl_add_u32 v0, v3, 2, 0
	v_fma_f32 v18, v4, 2.0, -v24
	v_add_u32_e32 v4, 0x400, v0
	s_waitcnt lgkmcnt(0)
	s_barrier
	ds_read2_b32 v[21:22], v0 offset1:160
	ds_read2_b32 v[13:14], v4 offset0:64 offset1:224
	ds_read_b32 v9, v0 offset:2560
	v_mov_b32_e32 v26, v34
	v_mov_b32_e32 v16, v36
	v_fmac_f32_e32 v26, 0x3f6c835e, v28
	v_fmac_f32_e32 v16, 0xbf6c835e, v39
	;; [unrolled: 1-line block ×4, first 2 shown]
	v_fma_f32 v19, v45, 2.0, -v25
	v_fma_f32 v20, v34, 2.0, -v26
	s_waitcnt lgkmcnt(0)
	s_barrier
	s_and_saveexec_b64 s[2:3], s[0:1]
	s_cbranch_execz .LBB0_15
; %bb.14:
	v_fma_f32 v23, v40, 2.0, -v45
	v_fma_f32 v35, v43, 2.0, -v34
	v_sub_f32_e32 v33, v23, v33
	v_add_f32_e32 v32, v32, v33
	v_mov_b32_e32 v33, v35
	v_fmac_f32_e32 v33, 0xbec3ef15, v31
	v_fmac_f32_e32 v33, 0x3f6c835e, v30
	v_fma_f32 v27, v44, 2.0, -v15
	v_fma_f32 v28, v36, 2.0, -v16
	;; [unrolled: 1-line block ×4, first 2 shown]
	v_add_f32_e32 v23, v17, v29
	v_mad_u32_u24 v29, v3, 60, v0
	v_fma_f32 v17, v17, 2.0, -v23
	ds_write2_b64 v29, v[27:28], v[34:35] offset1:1
	ds_write2_b64 v29, v[17:18], v[19:20] offset0:2 offset1:3
	ds_write2_b64 v29, v[15:16], v[32:33] offset0:4 offset1:5
	;; [unrolled: 1-line block ×3, first 2 shown]
.LBB0_15:
	s_or_b64 exec, exec, s[2:3]
	v_and_b32_e32 v17, 15, v3
	v_lshlrev_b32_e32 v23, 5, v17
	s_load_dwordx2 s[2:3], s[4:5], 0x0
	s_waitcnt lgkmcnt(0)
	s_barrier
	global_load_dwordx4 v[32:35], v23, s[12:13]
	global_load_dwordx4 v[36:39], v23, s[12:13] offset:16
	ds_read2_b32 v[23:24], v0 offset1:160
	ds_read2_b32 v[26:27], v4 offset0:64 offset1:224
	ds_read_b32 v40, v0 offset:2560
	v_lshrrev_b32_e32 v4, 4, v3
	v_mul_u32_u24_e32 v4, 0x50, v4
	v_or_b32_e32 v4, v4, v17
	s_movk_i32 s0, 0x50
	v_lshl_add_u32 v4, v4, 2, 0
	v_cmp_gt_u32_e64 s[0:1], s0, v3
	s_waitcnt vmcnt(0) lgkmcnt(0)
	s_barrier
	v_mul_f32_e32 v17, v24, v33
	v_mul_f32_e32 v28, v22, v33
	v_mul_f32_e32 v33, v26, v35
	v_mul_f32_e32 v29, v13, v35
	v_mul_f32_e32 v35, v27, v37
	v_mul_f32_e32 v30, v14, v37
	v_mul_f32_e32 v37, v40, v39
	v_fma_f32 v25, v22, v32, -v17
	v_fmac_f32_e32 v28, v24, v32
	v_fma_f32 v22, v13, v34, -v33
	v_fma_f32 v32, v14, v36, -v35
	;; [unrolled: 1-line block ×3, first 2 shown]
	v_mul_f32_e32 v31, v9, v39
	v_fmac_f32_e32 v30, v27, v36
	v_add_f32_e32 v9, v21, v25
	v_add_f32_e32 v13, v22, v32
	;; [unrolled: 1-line block ×3, first 2 shown]
	v_fmac_f32_e32 v29, v26, v34
	v_fmac_f32_e32 v31, v40, v38
	v_sub_f32_e32 v14, v25, v22
	v_sub_f32_e32 v26, v33, v32
	v_add_f32_e32 v36, v9, v22
	v_fma_f32 v9, -0.5, v13, v21
	v_fmac_f32_e32 v21, -0.5, v27
	v_sub_f32_e32 v17, v28, v31
	v_sub_f32_e32 v24, v29, v30
	v_add_f32_e32 v37, v14, v26
	v_mov_b32_e32 v14, v9
	v_mov_b32_e32 v26, v21
	v_sub_f32_e32 v34, v22, v25
	v_sub_f32_e32 v35, v32, v33
	v_fmac_f32_e32 v9, 0xbf737871, v17
	v_fmac_f32_e32 v21, 0x3f737871, v24
	;; [unrolled: 1-line block ×4, first 2 shown]
	v_add_f32_e32 v27, v34, v35
	v_add_f32_e32 v13, v36, v32
	v_fmac_f32_e32 v9, 0xbf167918, v24
	v_fmac_f32_e32 v21, 0xbf167918, v17
	v_fmac_f32_e32 v14, 0x3f167918, v24
	v_fmac_f32_e32 v26, 0x3f167918, v17
	v_add_f32_e32 v13, v13, v33
	v_fmac_f32_e32 v9, 0x3e9e377a, v37
	v_fmac_f32_e32 v21, 0x3e9e377a, v27
	;; [unrolled: 1-line block ×4, first 2 shown]
	ds_write_b32 v4, v9 offset:256
	ds_write2_b32 v4, v13, v14 offset1:16
	ds_write2_b32 v4, v26, v21 offset0:32 offset1:48
	s_waitcnt lgkmcnt(0)
	s_barrier
	s_and_saveexec_b64 s[4:5], s[0:1]
	s_cbranch_execz .LBB0_17
; %bb.16:
	v_add_u32_e32 v7, 0x400, v0
	ds_read2_b32 v[13:14], v0 offset1:80
	ds_read2_b32 v[26:27], v0 offset0:160 offset1:240
	ds_read2_b32 v[9:10], v7 offset0:64 offset1:144
	v_add_u32_e32 v7, 0x600, v0
	ds_read2_b32 v[11:12], v7 offset0:96 offset1:176
	v_add_u32_e32 v7, 0x800, v0
	ds_read2_b32 v[7:8], v7 offset0:128 offset1:208
	s_waitcnt lgkmcnt(3)
	v_mov_b32_e32 v21, v27
.LBB0_17:
	s_or_b64 exec, exec, s[4:5]
	v_add_f32_e32 v17, v23, v28
	v_add_f32_e32 v17, v17, v29
	;; [unrolled: 1-line block ×5, first 2 shown]
	v_fma_f32 v17, -0.5, v17, v23
	v_sub_f32_e32 v27, v25, v33
	v_mov_b32_e32 v25, v17
	v_fmac_f32_e32 v25, 0xbf737871, v27
	v_sub_f32_e32 v32, v22, v32
	v_sub_f32_e32 v22, v28, v29
	;; [unrolled: 1-line block ×3, first 2 shown]
	v_fmac_f32_e32 v17, 0x3f737871, v27
	v_fmac_f32_e32 v25, 0xbf167918, v32
	v_add_f32_e32 v22, v22, v33
	v_fmac_f32_e32 v17, 0x3f167918, v32
	v_fmac_f32_e32 v25, 0x3e9e377a, v22
	;; [unrolled: 1-line block ×3, first 2 shown]
	v_add_f32_e32 v22, v28, v31
	v_fmac_f32_e32 v23, -0.5, v22
	v_mov_b32_e32 v22, v23
	v_fmac_f32_e32 v22, 0x3f737871, v32
	v_sub_f32_e32 v28, v29, v28
	v_sub_f32_e32 v29, v30, v31
	v_fmac_f32_e32 v23, 0xbf737871, v32
	v_fmac_f32_e32 v22, 0xbf167918, v27
	v_add_f32_e32 v28, v28, v29
	v_fmac_f32_e32 v23, 0x3f167918, v27
	v_fmac_f32_e32 v22, 0x3e9e377a, v28
	;; [unrolled: 1-line block ×3, first 2 shown]
	s_waitcnt lgkmcnt(0)
	s_barrier
	ds_write2_b32 v4, v24, v25 offset1:16
	ds_write2_b32 v4, v22, v23 offset0:32 offset1:48
	ds_write_b32 v4, v17 offset:256
	s_waitcnt lgkmcnt(0)
	s_barrier
	s_and_saveexec_b64 s[4:5], s[0:1]
	s_cbranch_execnz .LBB0_20
; %bb.18:
	s_or_b64 exec, exec, s[4:5]
	s_and_b64 s[0:1], vcc, s[0:1]
	s_and_saveexec_b64 s[4:5], s[0:1]
	s_cbranch_execnz .LBB0_21
.LBB0_19:
	s_endpgm
.LBB0_20:
	v_add_u32_e32 v4, 0x400, v0
	ds_read2_b32 v[24:25], v0 offset1:80
	ds_read2_b32 v[22:23], v0 offset0:160 offset1:240
	ds_read2_b32 v[17:18], v4 offset0:64 offset1:144
	v_add_u32_e32 v4, 0x600, v0
	v_add_u32_e32 v0, 0x800, v0
	ds_read2_b32 v[19:20], v4 offset0:96 offset1:176
	ds_read2_b32 v[15:16], v0 offset0:128 offset1:208
	s_or_b64 exec, exec, s[4:5]
	s_and_b64 s[0:1], vcc, s[0:1]
	s_and_saveexec_b64 s[4:5], s[0:1]
	s_cbranch_execz .LBB0_19
.LBB0_21:
	v_mul_u32_u24_e32 v0, 9, v3
	v_lshlrev_b32_e32 v0, 3, v0
	global_load_dwordx4 v[27:30], v0, s[12:13] offset:512
	global_load_dwordx4 v[31:34], v0, s[12:13] offset:528
	;; [unrolled: 1-line block ×4, first 2 shown]
	global_load_dwordx2 v[43:44], v0, s[12:13] offset:576
	v_mul_lo_u32 v0, s3, v5
	v_mul_lo_u32 v4, s2, v6
	v_mad_u64_u32 v[5:6], s[0:1], s2, v5, 0
	s_mov_b32 s3, 0xbf167918
	s_mov_b32 s0, 0x3f737871
	v_add3_u32 v6, v6, v4, v0
	v_lshlrev_b64 v[5:6], 3, v[5:6]
	s_mov_b32 s1, 0x3f167918
	v_add_co_u32_e32 v5, vcc, s10, v5
	s_mov_b32 s2, 0xbf737871
	s_waitcnt vmcnt(4) lgkmcnt(3)
	v_mul_f32_e32 v0, v22, v29
	s_waitcnt vmcnt(3) lgkmcnt(2)
	v_mul_f32_e32 v4, v17, v33
	v_mul_f32_e32 v22, v22, v30
	s_waitcnt vmcnt(1) lgkmcnt(1)
	v_mul_f32_e32 v46, v19, v41
	s_waitcnt lgkmcnt(0)
	v_mul_f32_e32 v45, v15, v37
	v_mul_f32_e32 v47, v23, v32
	;; [unrolled: 1-line block ×5, first 2 shown]
	v_fmac_f32_e32 v0, v26, v30
	v_fma_f32 v22, v26, v29, -v22
	s_waitcnt vmcnt(0)
	v_mul_f32_e32 v26, v8, v44
	v_mul_f32_e32 v29, v10, v40
	;; [unrolled: 1-line block ×3, first 2 shown]
	v_fmac_f32_e32 v4, v9, v34
	v_fmac_f32_e32 v46, v11, v42
	v_mul_f32_e32 v19, v19, v42
	v_mul_f32_e32 v15, v15, v38
	;; [unrolled: 1-line block ×4, first 2 shown]
	v_fmac_f32_e32 v45, v7, v38
	v_fma_f32 v36, v10, v39, -v48
	v_fma_f32 v38, v12, v35, -v50
	v_fmac_f32_e32 v32, v23, v31
	v_fmac_f32_e32 v26, v16, v43
	;; [unrolled: 1-line block ×4, first 2 shown]
	v_add_f32_e32 v10, v4, v46
	v_mul_f32_e32 v17, v17, v34
	v_fma_f32 v19, v11, v41, -v19
	v_fma_f32 v34, v7, v37, -v15
	;; [unrolled: 1-line block ×3, first 2 shown]
	v_fmac_f32_e32 v28, v25, v27
	v_add_f32_e32 v15, v36, v38
	v_sub_f32_e32 v18, v32, v29
	v_sub_f32_e32 v20, v26, v30
	v_add_f32_e32 v27, v29, v30
	v_fma_f32 v41, -0.5, v10, v24
	v_mul_f32_e32 v49, v16, v44
	v_fma_f32 v33, v9, v33, -v17
	v_sub_f32_e32 v11, v22, v34
	v_fma_f32 v42, -0.5, v15, v40
	v_add_f32_e32 v15, v18, v20
	v_fma_f32 v18, -0.5, v27, v28
	v_mov_b32_e32 v27, v41
	v_fma_f32 v37, v8, v43, -v49
	v_sub_f32_e32 v7, v0, v4
	v_sub_f32_e32 v8, v45, v46
	v_sub_f32_e32 v9, v33, v19
	v_fmac_f32_e32 v27, 0x3f737871, v11
	v_fmac_f32_e32 v41, 0xbf737871, v11
	v_add_f32_e32 v7, v7, v8
	v_fmac_f32_e32 v27, 0x3f167918, v9
	v_fmac_f32_e32 v41, 0xbf167918, v9
	;; [unrolled: 1-line block ×4, first 2 shown]
	v_add_f32_e32 v7, v24, v0
	v_add_f32_e32 v7, v7, v4
	v_fma_f32 v21, v21, v31, -v47
	v_add_f32_e32 v39, v0, v45
	v_add_f32_e32 v7, v7, v46
	v_sub_f32_e32 v12, v21, v36
	v_sub_f32_e32 v14, v37, v38
	v_sub_f32_e32 v31, v4, v0
	v_sub_f32_e32 v35, v46, v45
	v_fma_f32 v20, -0.5, v39, v24
	v_sub_f32_e32 v10, v36, v21
	v_sub_f32_e32 v44, v38, v37
	v_add_f32_e32 v24, v45, v7
	v_add_f32_e32 v7, v32, v28
	v_sub_f32_e32 v16, v32, v26
	v_sub_f32_e32 v25, v21, v37
	v_add_f32_e32 v14, v12, v14
	v_add_f32_e32 v12, v31, v35
	v_mov_b32_e32 v31, v42
	v_mov_b32_e32 v35, v18
	v_add_f32_e32 v44, v10, v44
	v_add_f32_e32 v10, v21, v37
	;; [unrolled: 1-line block ×3, first 2 shown]
	v_sub_f32_e32 v17, v29, v30
	v_sub_f32_e32 v23, v36, v38
	v_fmac_f32_e32 v31, 0xbf737871, v16
	v_fmac_f32_e32 v35, 0x3f737871, v25
	v_mov_b32_e32 v43, v20
	v_fma_f32 v47, -0.5, v10, v40
	v_sub_f32_e32 v10, v29, v32
	v_sub_f32_e32 v49, v30, v26
	v_fmac_f32_e32 v42, 0x3f737871, v16
	v_add_f32_e32 v7, v30, v7
	v_fmac_f32_e32 v31, 0xbf167918, v17
	v_fmac_f32_e32 v35, 0x3f167918, v23
	;; [unrolled: 1-line block ×3, first 2 shown]
	v_add_f32_e32 v49, v10, v49
	v_add_f32_e32 v10, v32, v26
	v_fmac_f32_e32 v20, 0x3f737871, v9
	v_fmac_f32_e32 v42, 0x3f167918, v17
	v_add_f32_e32 v26, v26, v7
	v_sub_f32_e32 v7, v22, v33
	v_sub_f32_e32 v9, v34, v19
	v_fmac_f32_e32 v31, 0x3e9e377a, v14
	v_fmac_f32_e32 v35, 0x3e9e377a, v15
	;; [unrolled: 1-line block ×5, first 2 shown]
	v_add_f32_e32 v14, v7, v9
	v_sub_f32_e32 v9, v33, v22
	v_sub_f32_e32 v11, v19, v34
	v_mul_f32_e32 v8, 0x3f4f1bbd, v35
	v_add_f32_e32 v7, v33, v19
	v_add_f32_e32 v11, v9, v11
	;; [unrolled: 1-line block ×3, first 2 shown]
	v_fma_f32 v39, v31, s3, -v8
	v_fma_f32 v50, -0.5, v10, v28
	v_fmac_f32_e32 v18, 0xbf737871, v25
	v_fma_f32 v28, -0.5, v7, v13
	v_mul_f32_e32 v7, 0x3f4f1bbd, v31
	v_fma_f32 v31, -0.5, v9, v13
	v_fmac_f32_e32 v18, 0xbf167918, v23
	v_sub_f32_e32 v0, v0, v45
	v_mov_b32_e32 v29, v28
	v_sub_f32_e32 v4, v4, v46
	v_mov_b32_e32 v32, v31
	v_fmac_f32_e32 v18, 0x3e9e377a, v15
	v_fmac_f32_e32 v29, 0xbf737871, v0
	;; [unrolled: 1-line block ×9, first 2 shown]
	v_mul_f32_e32 v0, 0x3f167918, v18
	v_add_f32_e32 v4, v13, v22
	v_mov_b32_e32 v48, v47
	v_fmac_f32_e32 v28, 0x3e9e377a, v14
	v_fmac_f32_e32 v0, 0x3f4f1bbd, v42
	v_add_f32_e32 v4, v4, v33
	v_add_f32_e32 v13, v21, v40
	v_sub_f32_e32 v8, v27, v39
	v_fmac_f32_e32 v48, 0x3f737871, v17
	v_fmac_f32_e32 v47, 0xbf737871, v17
	v_sub_f32_e32 v17, v24, v26
	v_fmac_f32_e32 v29, 0x3e9e377a, v14
	v_sub_f32_e32 v14, v28, v0
	v_add_f32_e32 v4, v4, v19
	v_add_f32_e32 v13, v36, v13
	;; [unrolled: 1-line block ×5, first 2 shown]
	v_mov_b32_e32 v0, s11
	v_add_f32_e32 v13, v38, v13
	v_addc_co_u32_e32 v6, vcc, v0, v6, vcc
	v_lshlrev_b64 v[0:1], 3, v[1:2]
	v_mov_b32_e32 v51, v50
	v_add_f32_e32 v4, v34, v4
	v_add_f32_e32 v13, v37, v13
	v_fmac_f32_e32 v48, 0xbf167918, v16
	v_fmac_f32_e32 v51, 0xbf737871, v23
	;; [unrolled: 1-line block ×4, first 2 shown]
	v_sub_f32_e32 v16, v4, v13
	v_add_f32_e32 v26, v4, v13
	v_mov_b32_e32 v4, 0
	v_add_co_u32_e32 v5, vcc, v5, v0
	v_fmac_f32_e32 v51, 0x3f167918, v25
	v_fmac_f32_e32 v50, 0xbf167918, v25
	v_addc_co_u32_e32 v6, vcc, v6, v1, vcc
	v_lshlrev_b64 v[0:1], 3, v[3:4]
	v_fmac_f32_e32 v48, 0x3e9e377a, v44
	v_fmac_f32_e32 v51, 0x3e9e377a, v49
	v_fmac_f32_e32 v50, 0x3e9e377a, v49
	v_fmac_f32_e32 v47, 0x3e9e377a, v44
	v_mul_f32_e32 v10, 0x3e9e377a, v51
	v_mul_f32_e32 v44, 0xbf737871, v47
	;; [unrolled: 1-line block ×5, first 2 shown]
	v_add_co_u32_e32 v0, vcc, v5, v0
	v_fmac_f32_e32 v43, 0x3e9e377a, v12
	v_fma_f32 v52, v48, s2, -v10
	v_fmac_f32_e32 v20, 0x3e9e377a, v12
	v_fmac_f32_e32 v44, 0x3e9e377a, v50
	v_fmac_f32_e32 v25, 0x3f4f1bbd, v18
	v_fma_f32 v30, v35, s1, -v7
	v_fmac_f32_e32 v32, 0x3e9e377a, v11
	v_fma_f32 v35, v51, s0, -v9
	v_fmac_f32_e32 v31, 0x3e9e377a, v11
	v_fmac_f32_e32 v45, 0x3e9e377a, v47
	v_addc_co_u32_e32 v1, vcc, v6, v1, vcc
	s_movk_i32 s0, 0x1000
	v_or_b32_e32 v3, 0x280, v3
	v_sub_f32_e32 v12, v20, v44
	v_sub_f32_e32 v15, v41, v25
	v_add_f32_e32 v21, v43, v52
	v_add_f32_e32 v23, v20, v44
	;; [unrolled: 1-line block ×6, first 2 shown]
	global_store_dwordx2 v[0:1], v[26:27], off
	global_store_dwordx2 v[0:1], v[24:25], off offset:640
	global_store_dwordx2 v[0:1], v[22:23], off offset:1280
	global_store_dwordx2 v[0:1], v[20:21], off offset:1920
	global_store_dwordx2 v[0:1], v[18:19], off offset:2560
	global_store_dwordx2 v[0:1], v[16:17], off offset:3200
	global_store_dwordx2 v[0:1], v[14:15], off offset:3840
	v_add_co_u32_e32 v0, vcc, s0, v0
	v_lshlrev_b64 v[2:3], 3, v[3:4]
	v_addc_co_u32_e32 v1, vcc, 0, v1, vcc
	v_add_co_u32_e32 v2, vcc, v5, v2
	v_sub_f32_e32 v10, v43, v52
	v_sub_f32_e32 v9, v32, v35
	;; [unrolled: 1-line block ×3, first 2 shown]
	v_addc_co_u32_e32 v3, vcc, v6, v3, vcc
	v_sub_f32_e32 v7, v29, v30
	global_store_dwordx2 v[0:1], v[11:12], off offset:384
	global_store_dwordx2 v[2:3], v[9:10], off
	global_store_dwordx2 v[0:1], v[7:8], off offset:1664
	s_endpgm
	.section	.rodata,"a",@progbits
	.p2align	6, 0x0
	.amdhsa_kernel fft_rtc_fwd_len800_factors_16_5_10_wgs_160_tpt_160_halfLds_sp_op_CI_CI_unitstride_sbrr_dirReg
		.amdhsa_group_segment_fixed_size 0
		.amdhsa_private_segment_fixed_size 0
		.amdhsa_kernarg_size 104
		.amdhsa_user_sgpr_count 6
		.amdhsa_user_sgpr_private_segment_buffer 1
		.amdhsa_user_sgpr_dispatch_ptr 0
		.amdhsa_user_sgpr_queue_ptr 0
		.amdhsa_user_sgpr_kernarg_segment_ptr 1
		.amdhsa_user_sgpr_dispatch_id 0
		.amdhsa_user_sgpr_flat_scratch_init 0
		.amdhsa_user_sgpr_private_segment_size 0
		.amdhsa_uses_dynamic_stack 0
		.amdhsa_system_sgpr_private_segment_wavefront_offset 0
		.amdhsa_system_sgpr_workgroup_id_x 1
		.amdhsa_system_sgpr_workgroup_id_y 0
		.amdhsa_system_sgpr_workgroup_id_z 0
		.amdhsa_system_sgpr_workgroup_info 0
		.amdhsa_system_vgpr_workitem_id 0
		.amdhsa_next_free_vgpr 53
		.amdhsa_next_free_sgpr 28
		.amdhsa_reserve_vcc 1
		.amdhsa_reserve_flat_scratch 0
		.amdhsa_float_round_mode_32 0
		.amdhsa_float_round_mode_16_64 0
		.amdhsa_float_denorm_mode_32 3
		.amdhsa_float_denorm_mode_16_64 3
		.amdhsa_dx10_clamp 1
		.amdhsa_ieee_mode 1
		.amdhsa_fp16_overflow 0
		.amdhsa_exception_fp_ieee_invalid_op 0
		.amdhsa_exception_fp_denorm_src 0
		.amdhsa_exception_fp_ieee_div_zero 0
		.amdhsa_exception_fp_ieee_overflow 0
		.amdhsa_exception_fp_ieee_underflow 0
		.amdhsa_exception_fp_ieee_inexact 0
		.amdhsa_exception_int_div_zero 0
	.end_amdhsa_kernel
	.text
.Lfunc_end0:
	.size	fft_rtc_fwd_len800_factors_16_5_10_wgs_160_tpt_160_halfLds_sp_op_CI_CI_unitstride_sbrr_dirReg, .Lfunc_end0-fft_rtc_fwd_len800_factors_16_5_10_wgs_160_tpt_160_halfLds_sp_op_CI_CI_unitstride_sbrr_dirReg
                                        ; -- End function
	.section	.AMDGPU.csdata,"",@progbits
; Kernel info:
; codeLenInByte = 4972
; NumSgprs: 32
; NumVgprs: 53
; ScratchSize: 0
; MemoryBound: 0
; FloatMode: 240
; IeeeMode: 1
; LDSByteSize: 0 bytes/workgroup (compile time only)
; SGPRBlocks: 3
; VGPRBlocks: 13
; NumSGPRsForWavesPerEU: 32
; NumVGPRsForWavesPerEU: 53
; Occupancy: 4
; WaveLimiterHint : 1
; COMPUTE_PGM_RSRC2:SCRATCH_EN: 0
; COMPUTE_PGM_RSRC2:USER_SGPR: 6
; COMPUTE_PGM_RSRC2:TRAP_HANDLER: 0
; COMPUTE_PGM_RSRC2:TGID_X_EN: 1
; COMPUTE_PGM_RSRC2:TGID_Y_EN: 0
; COMPUTE_PGM_RSRC2:TGID_Z_EN: 0
; COMPUTE_PGM_RSRC2:TIDIG_COMP_CNT: 0
	.type	__hip_cuid_8e87f6592dde5240,@object ; @__hip_cuid_8e87f6592dde5240
	.section	.bss,"aw",@nobits
	.globl	__hip_cuid_8e87f6592dde5240
__hip_cuid_8e87f6592dde5240:
	.byte	0                               ; 0x0
	.size	__hip_cuid_8e87f6592dde5240, 1

	.ident	"AMD clang version 19.0.0git (https://github.com/RadeonOpenCompute/llvm-project roc-6.4.0 25133 c7fe45cf4b819c5991fe208aaa96edf142730f1d)"
	.section	".note.GNU-stack","",@progbits
	.addrsig
	.addrsig_sym __hip_cuid_8e87f6592dde5240
	.amdgpu_metadata
---
amdhsa.kernels:
  - .args:
      - .actual_access:  read_only
        .address_space:  global
        .offset:         0
        .size:           8
        .value_kind:     global_buffer
      - .offset:         8
        .size:           8
        .value_kind:     by_value
      - .actual_access:  read_only
        .address_space:  global
        .offset:         16
        .size:           8
        .value_kind:     global_buffer
      - .actual_access:  read_only
        .address_space:  global
        .offset:         24
        .size:           8
        .value_kind:     global_buffer
      - .actual_access:  read_only
        .address_space:  global
        .offset:         32
        .size:           8
        .value_kind:     global_buffer
      - .offset:         40
        .size:           8
        .value_kind:     by_value
      - .actual_access:  read_only
        .address_space:  global
        .offset:         48
        .size:           8
        .value_kind:     global_buffer
      - .actual_access:  read_only
        .address_space:  global
        .offset:         56
        .size:           8
        .value_kind:     global_buffer
      - .offset:         64
        .size:           4
        .value_kind:     by_value
      - .actual_access:  read_only
        .address_space:  global
        .offset:         72
        .size:           8
        .value_kind:     global_buffer
      - .actual_access:  read_only
        .address_space:  global
        .offset:         80
        .size:           8
        .value_kind:     global_buffer
      - .actual_access:  read_only
        .address_space:  global
        .offset:         88
        .size:           8
        .value_kind:     global_buffer
      - .actual_access:  write_only
        .address_space:  global
        .offset:         96
        .size:           8
        .value_kind:     global_buffer
    .group_segment_fixed_size: 0
    .kernarg_segment_align: 8
    .kernarg_segment_size: 104
    .language:       OpenCL C
    .language_version:
      - 2
      - 0
    .max_flat_workgroup_size: 160
    .name:           fft_rtc_fwd_len800_factors_16_5_10_wgs_160_tpt_160_halfLds_sp_op_CI_CI_unitstride_sbrr_dirReg
    .private_segment_fixed_size: 0
    .sgpr_count:     32
    .sgpr_spill_count: 0
    .symbol:         fft_rtc_fwd_len800_factors_16_5_10_wgs_160_tpt_160_halfLds_sp_op_CI_CI_unitstride_sbrr_dirReg.kd
    .uniform_work_group_size: 1
    .uses_dynamic_stack: false
    .vgpr_count:     53
    .vgpr_spill_count: 0
    .wavefront_size: 64
amdhsa.target:   amdgcn-amd-amdhsa--gfx906
amdhsa.version:
  - 1
  - 2
...

	.end_amdgpu_metadata
